;; amdgpu-corpus repo=ROCm/rocFFT kind=compiled arch=gfx906 opt=O3
	.text
	.amdgcn_target "amdgcn-amd-amdhsa--gfx906"
	.amdhsa_code_object_version 6
	.protected	bluestein_single_back_len128_dim1_dp_op_CI_CI ; -- Begin function bluestein_single_back_len128_dim1_dp_op_CI_CI
	.globl	bluestein_single_back_len128_dim1_dp_op_CI_CI
	.p2align	8
	.type	bluestein_single_back_len128_dim1_dp_op_CI_CI,@function
bluestein_single_back_len128_dim1_dp_op_CI_CI: ; @bluestein_single_back_len128_dim1_dp_op_CI_CI
; %bb.0:
	s_load_dwordx4 s[0:3], s[4:5], 0x28
	v_lshrrev_b32_e32 v1, 4, v0
	v_lshl_or_b32 v116, s6, 4, v1
	v_mov_b32_e32 v117, 0
	s_waitcnt lgkmcnt(0)
	v_cmp_gt_u64_e32 vcc, s[0:1], v[116:117]
	s_and_saveexec_b64 s[0:1], vcc
	s_cbranch_execz .LBB0_15
; %bb.1:
	s_load_dwordx2 s[6:7], s[4:5], 0x0
	s_load_dwordx2 s[12:13], s[4:5], 0x38
	v_and_b32_e32 v117, 15, v0
	v_lshlrev_b32_e32 v65, 7, v1
	v_cmp_gt_u32_e32 vcc, 8, v117
	v_lshlrev_b32_e32 v119, 4, v117
	v_or_b32_e32 v64, v65, v117
	v_or_b32_e32 v122, 8, v117
	v_add_lshl_u32 v118, v65, v117, 4
	v_or_b32_e32 v123, 24, v117
	v_or_b32_e32 v121, 40, v117
	;; [unrolled: 1-line block ×3, first 2 shown]
	s_and_saveexec_b64 s[14:15], vcc
	s_cbranch_execz .LBB0_3
; %bb.2:
	s_load_dwordx2 s[0:1], s[4:5], 0x18
	v_mov_b32_e32 v8, s3
	v_or_b32_e32 v74, 0x48, v117
	v_or_b32_e32 v88, 0x58, v117
	;; [unrolled: 1-line block ×3, first 2 shown]
	s_waitcnt lgkmcnt(0)
	s_load_dwordx4 s[8:11], s[0:1], 0x0
	v_or_b32_e32 v129, 0x78, v117
	s_waitcnt lgkmcnt(0)
	v_mad_u64_u32 v[0:1], s[0:1], s10, v116, 0
	v_mad_u64_u32 v[2:3], s[0:1], s8, v117, 0
	;; [unrolled: 1-line block ×5, first 2 shown]
	v_mov_b32_e32 v1, v4
	v_lshlrev_b64 v[0:1], 4, v[0:1]
	v_mov_b32_e32 v3, v5
	v_add_co_u32_e64 v32, s[0:1], s2, v0
	v_mov_b32_e32 v0, v7
	v_addc_co_u32_e64 v33, s[0:1], v8, v1, s[0:1]
	v_mad_u64_u32 v[0:1], s[0:1], s9, v122, v[0:1]
	v_lshlrev_b64 v[2:3], 4, v[2:3]
	s_lshl_b64 s[2:3], s[8:9], 8
	v_mov_b32_e32 v7, v0
	v_add_co_u32_e64 v16, s[0:1], v32, v2
	v_lshlrev_b64 v[0:1], 4, v[6:7]
	v_addc_co_u32_e64 v17, s[0:1], v33, v3, s[0:1]
	v_add_co_u32_e64 v8, s[0:1], v32, v0
	v_addc_co_u32_e64 v9, s[0:1], v33, v1, s[0:1]
	v_mad_u64_u32 v[18:19], s[0:1], s8, v123, 0
	v_mov_b32_e32 v128, s3
	global_load_dwordx4 v[0:3], v[16:17], off
	global_load_dwordx4 v[4:7], v[8:9], off
	v_mad_u64_u32 v[19:20], s[0:1], s9, v123, v[19:20]
	v_add_co_u32_e64 v34, s[0:1], s2, v16
	v_addc_co_u32_e64 v35, s[0:1], v17, v128, s[0:1]
	v_lshlrev_b64 v[16:17], 4, v[18:19]
	global_load_dwordx4 v[12:15], v119, s[6:7]
	global_load_dwordx4 v[8:11], v119, s[6:7] offset:128
	v_add_co_u32_e64 v36, s[0:1], v32, v16
	v_addc_co_u32_e64 v37, s[0:1], v33, v17, s[0:1]
	v_mad_u64_u32 v[42:43], s[0:1], s8, v121, 0
	v_mad_u64_u32 v[44:45], s[0:1], s8, v120, 0
	v_add_co_u32_e64 v50, s[0:1], s2, v34
	global_load_dwordx4 v[16:19], v[34:35], off
	global_load_dwordx4 v[20:23], v[36:37], off
	global_load_dwordx4 v[24:27], v119, s[6:7] offset:256
	global_load_dwordx4 v[28:31], v119, s[6:7] offset:384
	v_addc_co_u32_e64 v51, s[0:1], v35, v128, s[0:1]
	v_mov_b32_e32 v34, v43
	v_mov_b32_e32 v35, v45
	v_mad_u64_u32 v[45:46], s[0:1], s9, v121, v[34:35]
	v_mad_u64_u32 v[46:47], s[0:1], s9, v120, v[35:36]
	v_mov_b32_e32 v43, v45
	v_lshlrev_b64 v[42:43], 4, v[42:43]
	v_mov_b32_e32 v45, v46
	v_lshlrev_b64 v[44:45], 4, v[44:45]
	v_add_co_u32_e64 v52, s[0:1], v32, v42
	v_addc_co_u32_e64 v53, s[0:1], v33, v43, s[0:1]
	v_add_co_u32_e64 v62, s[0:1], v32, v44
	v_addc_co_u32_e64 v63, s[0:1], v33, v45, s[0:1]
	;; [unrolled: 2-line block ×3, first 2 shown]
	v_mad_u64_u32 v[72:73], s[0:1], s8, v74, 0
	global_load_dwordx4 v[34:37], v119, s[6:7] offset:512
	global_load_dwordx4 v[38:41], v119, s[6:7] offset:640
	global_load_dwordx4 v[42:45], v[50:51], off
	global_load_dwordx4 v[46:49], v[52:53], off
	s_nop 0
	global_load_dwordx4 v[50:53], v[70:71], off
	global_load_dwordx4 v[54:57], v[62:63], off
	global_load_dwordx4 v[58:61], v119, s[6:7] offset:768
	global_load_dwordx4 v[66:69], v119, s[6:7] offset:896
	v_mov_b32_e32 v62, v73
	v_mad_u64_u32 v[62:63], s[0:1], s9, v74, v[62:63]
	v_add_co_u32_e64 v86, s[0:1], s2, v70
	v_mov_b32_e32 v73, v62
	v_lshlrev_b64 v[62:63], 4, v[72:73]
	v_addc_co_u32_e64 v87, s[0:1], v71, v128, s[0:1]
	v_add_co_u32_e64 v62, s[0:1], v32, v62
	v_addc_co_u32_e64 v63, s[0:1], v33, v63, s[0:1]
	v_mad_u64_u32 v[90:91], s[0:1], s8, v88, 0
	global_load_dwordx4 v[70:73], v[86:87], off
	global_load_dwordx4 v[74:77], v[62:63], off
	global_load_dwordx4 v[78:81], v119, s[6:7] offset:1024
	global_load_dwordx4 v[82:85], v119, s[6:7] offset:1152
	v_mov_b32_e32 v62, v91
	v_mad_u64_u32 v[62:63], s[0:1], s9, v88, v[62:63]
	v_add_co_u32_e64 v102, s[0:1], s2, v86
	v_mov_b32_e32 v91, v62
	v_lshlrev_b64 v[62:63], 4, v[90:91]
	v_addc_co_u32_e64 v103, s[0:1], v87, v128, s[0:1]
	v_add_co_u32_e64 v62, s[0:1], v32, v62
	v_addc_co_u32_e64 v63, s[0:1], v33, v63, s[0:1]
	v_mad_u64_u32 v[106:107], s[0:1], s8, v104, 0
	;; [unrolled: 13-line block ×3, first 2 shown]
	global_load_dwordx4 v[102:105], v[114:115], off
	global_load_dwordx4 v[106:109], v[62:63], off
	global_load_dwordx4 v[110:113], v119, s[6:7] offset:1536
                                        ; kill: killed $vgpr62 killed $vgpr63
	global_load_dwordx4 v[124:127], v119, s[6:7] offset:1664
	v_mov_b32_e32 v62, v133
	v_mad_u64_u32 v[62:63], s[0:1], s9, v129, v[62:63]
	v_add_co_u32_e64 v114, s[0:1], s2, v114
	v_mov_b32_e32 v133, v62
	v_lshlrev_b64 v[62:63], 4, v[132:133]
	v_addc_co_u32_e64 v115, s[0:1], v115, v128, s[0:1]
	global_load_dwordx4 v[128:131], v[114:115], off
	v_add_co_u32_e64 v32, s[0:1], v32, v62
	v_addc_co_u32_e64 v33, s[0:1], v33, v63, s[0:1]
	global_load_dwordx4 v[132:135], v119, s[6:7] offset:1792
	global_load_dwordx4 v[136:139], v[32:33], off
	global_load_dwordx4 v[140:143], v119, s[6:7] offset:1920
	s_waitcnt vmcnt(29)
	v_mul_f64 v[32:33], v[2:3], v[14:15]
	v_mul_f64 v[14:15], v[0:1], v[14:15]
	s_waitcnt vmcnt(24)
	v_mul_f64 v[144:145], v[22:23], v[30:31]
	v_mul_f64 v[30:31], v[20:21], v[30:31]
	;; [unrolled: 1-line block ×6, first 2 shown]
	v_fma_f64 v[0:1], v[0:1], v[12:13], v[32:33]
	v_fma_f64 v[2:3], v[2:3], v[12:13], -v[14:15]
	v_fma_f64 v[12:13], v[20:21], v[28:29], v[144:145]
	s_waitcnt vmcnt(21)
	v_mul_f64 v[146:147], v[44:45], v[36:37]
	v_mul_f64 v[36:37], v[42:43], v[36:37]
	v_fma_f64 v[14:15], v[22:23], v[28:29], -v[30:31]
	s_waitcnt vmcnt(20)
	v_mul_f64 v[20:21], v[48:49], v[40:41]
	v_mul_f64 v[22:23], v[46:47], v[40:41]
	v_fma_f64 v[4:5], v[4:5], v[8:9], v[62:63]
	v_fma_f64 v[6:7], v[6:7], v[8:9], -v[10:11]
	v_fma_f64 v[8:9], v[16:17], v[24:25], v[114:115]
	v_fma_f64 v[10:11], v[18:19], v[24:25], -v[26:27]
	s_waitcnt vmcnt(17)
	v_mul_f64 v[24:25], v[52:53], v[60:61]
	v_mul_f64 v[26:27], v[50:51], v[60:61]
	s_waitcnt vmcnt(16)
	v_mul_f64 v[28:29], v[56:57], v[68:69]
	v_mul_f64 v[30:31], v[54:55], v[68:69]
	v_fma_f64 v[16:17], v[42:43], v[34:35], v[146:147]
	v_fma_f64 v[18:19], v[44:45], v[34:35], -v[36:37]
	v_fma_f64 v[20:21], v[46:47], v[38:39], v[20:21]
	v_fma_f64 v[22:23], v[48:49], v[38:39], -v[22:23]
	;; [unrolled: 2-line block ×3, first 2 shown]
	v_lshlrev_b32_e32 v32, 4, v64
	v_fma_f64 v[28:29], v[54:55], v[66:67], v[28:29]
	v_fma_f64 v[30:31], v[56:57], v[66:67], -v[30:31]
	ds_write_b128 v32, v[0:3]
	ds_write_b128 v118, v[4:7] offset:128
	ds_write_b128 v118, v[8:11] offset:256
	;; [unrolled: 1-line block ×7, first 2 shown]
	s_waitcnt vmcnt(13)
	v_mul_f64 v[0:1], v[72:73], v[80:81]
	v_mul_f64 v[2:3], v[70:71], v[80:81]
	s_waitcnt vmcnt(12)
	v_mul_f64 v[4:5], v[76:77], v[84:85]
	v_mul_f64 v[6:7], v[74:75], v[84:85]
	v_fma_f64 v[0:1], v[70:71], v[78:79], v[0:1]
	v_fma_f64 v[2:3], v[72:73], v[78:79], -v[2:3]
	v_fma_f64 v[4:5], v[74:75], v[82:83], v[4:5]
	v_fma_f64 v[6:7], v[76:77], v[82:83], -v[6:7]
	s_waitcnt vmcnt(9)
	v_mul_f64 v[8:9], v[88:89], v[96:97]
	v_mul_f64 v[10:11], v[86:87], v[96:97]
	s_waitcnt vmcnt(8)
	v_mul_f64 v[12:13], v[92:93], v[100:101]
	v_mul_f64 v[14:15], v[90:91], v[100:101]
	v_fma_f64 v[8:9], v[86:87], v[94:95], v[8:9]
	v_fma_f64 v[10:11], v[88:89], v[94:95], -v[10:11]
	v_fma_f64 v[12:13], v[90:91], v[98:99], v[12:13]
	v_fma_f64 v[14:15], v[92:93], v[98:99], -v[14:15]
	s_waitcnt vmcnt(5)
	v_mul_f64 v[16:17], v[104:105], v[112:113]
	v_mul_f64 v[18:19], v[102:103], v[112:113]
	s_waitcnt vmcnt(4)
	v_mul_f64 v[20:21], v[108:109], v[126:127]
	v_mul_f64 v[22:23], v[106:107], v[126:127]
	v_fma_f64 v[16:17], v[102:103], v[110:111], v[16:17]
	v_fma_f64 v[18:19], v[104:105], v[110:111], -v[18:19]
	v_fma_f64 v[20:21], v[106:107], v[124:125], v[20:21]
	v_fma_f64 v[22:23], v[108:109], v[124:125], -v[22:23]
	s_waitcnt vmcnt(2)
	v_mul_f64 v[24:25], v[130:131], v[134:135]
	v_mul_f64 v[26:27], v[128:129], v[134:135]
	s_waitcnt vmcnt(0)
	v_mul_f64 v[28:29], v[138:139], v[142:143]
	v_mul_f64 v[30:31], v[136:137], v[142:143]
	v_fma_f64 v[24:25], v[128:129], v[132:133], v[24:25]
	v_fma_f64 v[26:27], v[130:131], v[132:133], -v[26:27]
	v_fma_f64 v[28:29], v[136:137], v[140:141], v[28:29]
	v_fma_f64 v[30:31], v[138:139], v[140:141], -v[30:31]
	ds_write_b128 v118, v[0:3] offset:1024
	ds_write_b128 v118, v[4:7] offset:1152
	;; [unrolled: 1-line block ×8, first 2 shown]
.LBB0_3:
	s_or_b64 exec, exec, s[14:15]
	s_load_dwordx2 s[0:1], s[4:5], 0x20
	s_load_dwordx2 s[8:9], s[4:5], 0x8
	s_waitcnt lgkmcnt(0)
	s_barrier
	s_waitcnt lgkmcnt(0)
                                        ; implicit-def: $vgpr34_vgpr35
                                        ; implicit-def: $vgpr2_vgpr3
                                        ; implicit-def: $vgpr52_vgpr53
                                        ; implicit-def: $vgpr60_vgpr61
                                        ; implicit-def: $vgpr48_vgpr49
                                        ; implicit-def: $vgpr56_vgpr57
                                        ; implicit-def: $vgpr36_vgpr37
                                        ; implicit-def: $vgpr44_vgpr45
                                        ; implicit-def: $vgpr40_vgpr41
                                        ; implicit-def: $vgpr24_vgpr25
                                        ; implicit-def: $vgpr28_vgpr29
                                        ; implicit-def: $vgpr16_vgpr17
                                        ; implicit-def: $vgpr20_vgpr21
                                        ; implicit-def: $vgpr8_vgpr9
                                        ; implicit-def: $vgpr12_vgpr13
                                        ; implicit-def: $vgpr4_vgpr5
	s_and_saveexec_b64 s[2:3], vcc
	s_cbranch_execz .LBB0_5
; %bb.4:
	v_lshlrev_b32_e32 v52, 4, v64
	ds_read_b128 v[0:3], v52
	ds_read_b128 v[4:7], v52 offset:128
	ds_read_b128 v[12:15], v52 offset:256
	ds_read_b128 v[8:11], v52 offset:384
	ds_read_b128 v[20:23], v52 offset:512
	ds_read_b128 v[16:19], v52 offset:640
	ds_read_b128 v[28:31], v52 offset:768
	ds_read_b128 v[24:27], v52 offset:896
	ds_read_b128 v[40:43], v52 offset:1024
	ds_read_b128 v[32:35], v52 offset:1152
	ds_read_b128 v[44:47], v52 offset:1280
	ds_read_b128 v[36:39], v52 offset:1408
	ds_read_b128 v[56:59], v52 offset:1536
	ds_read_b128 v[48:51], v52 offset:1664
	ds_read_b128 v[60:63], v52 offset:1792
	ds_read_b128 v[52:55], v52 offset:1920
.LBB0_5:
	s_or_b64 exec, exec, s[2:3]
	s_waitcnt lgkmcnt(7)
	v_add_f64 v[40:41], v[0:1], -v[40:41]
	v_add_f64 v[42:43], v[2:3], -v[42:43]
	s_waitcnt lgkmcnt(3)
	v_add_f64 v[56:57], v[20:21], -v[56:57]
	v_add_f64 v[58:59], v[22:23], -v[58:59]
	;; [unrolled: 1-line block ×4, first 2 shown]
	s_waitcnt lgkmcnt(1)
	v_add_f64 v[60:61], v[28:29], -v[60:61]
	v_add_f64 v[62:63], v[30:31], -v[62:63]
	v_fma_f64 v[0:1], v[0:1], 2.0, -v[40:41]
	v_fma_f64 v[2:3], v[2:3], 2.0, -v[42:43]
	;; [unrolled: 1-line block ×8, first 2 shown]
	v_add_f64 v[32:33], v[4:5], -v[32:33]
	v_add_f64 v[34:35], v[6:7], -v[34:35]
	;; [unrolled: 1-line block ×6, first 2 shown]
	s_waitcnt lgkmcnt(0)
	v_add_f64 v[52:53], v[24:25], -v[52:53]
	v_add_f64 v[54:55], v[26:27], -v[54:55]
	v_fma_f64 v[4:5], v[4:5], 2.0, -v[32:33]
	v_fma_f64 v[6:7], v[6:7], 2.0, -v[34:35]
	;; [unrolled: 1-line block ×4, first 2 shown]
	v_add_f64 v[20:21], v[0:1], -v[20:21]
	v_add_f64 v[66:67], v[2:3], -v[22:23]
	;; [unrolled: 1-line block ×3, first 2 shown]
	v_add_f64 v[56:57], v[42:43], v[56:57]
	v_add_f64 v[28:29], v[12:13], -v[28:29]
	v_add_f64 v[30:31], v[14:15], -v[30:31]
	;; [unrolled: 1-line block ×3, first 2 shown]
	v_add_f64 v[60:61], v[60:61], v[46:47]
	v_fma_f64 v[8:9], v[8:9], 2.0, -v[36:37]
	v_fma_f64 v[10:11], v[10:11], 2.0, -v[38:39]
	;; [unrolled: 1-line block ×12, first 2 shown]
	v_add_f64 v[44:45], v[4:5], -v[16:17]
	v_add_f64 v[46:47], v[6:7], -v[18:19]
	s_mov_b32 s4, 0x667f3bcd
	s_mov_b32 s5, 0xbfe6a09e
	v_add_f64 v[50:51], v[32:33], -v[50:51]
	v_add_f64 v[48:49], v[48:49], v[34:35]
	v_add_f64 v[72:73], v[8:9], -v[24:25]
	v_add_f64 v[74:75], v[10:11], -v[26:27]
	;; [unrolled: 1-line block ×3, first 2 shown]
	v_add_f64 v[52:53], v[52:53], v[38:39]
	v_fma_f64 v[76:77], v[4:5], 2.0, -v[44:45]
	v_fma_f64 v[78:79], v[6:7], 2.0, -v[46:47]
	v_fma_f64 v[4:5], v[12:13], s[4:5], v[40:41]
	v_fma_f64 v[6:7], v[14:15], s[4:5], v[42:43]
	s_mov_b32 s11, 0x3fe6a09e
	s_mov_b32 s10, s4
	v_fma_f64 v[32:33], v[32:33], 2.0, -v[50:51]
	v_fma_f64 v[34:35], v[34:35], 2.0, -v[48:49]
	;; [unrolled: 1-line block ×6, first 2 shown]
	v_add_f64 v[18:19], v[70:71], -v[2:3]
	v_fma_f64 v[8:9], v[62:63], s[10:11], v[58:59]
	v_fma_f64 v[10:11], v[60:61], s[10:11], v[56:57]
	;; [unrolled: 1-line block ×4, first 2 shown]
	v_add_f64 v[0:1], v[68:69], -v[0:1]
	v_add_f64 v[4:5], v[20:21], -v[30:31]
	v_add_f64 v[26:27], v[66:67], v[28:29]
	v_fma_f64 v[28:29], v[36:37], s[4:5], v[32:33]
	v_fma_f64 v[60:61], v[60:61], s[4:5], v[8:9]
	;; [unrolled: 1-line block ×3, first 2 shown]
	v_fma_f64 v[8:9], v[40:41], 2.0, -v[2:3]
	v_fma_f64 v[16:17], v[42:43], 2.0, -v[22:23]
	v_fma_f64 v[30:31], v[38:39], s[4:5], v[34:35]
	v_fma_f64 v[40:41], v[54:55], s[10:11], v[50:51]
	;; [unrolled: 1-line block ×3, first 2 shown]
	v_fma_f64 v[6:7], v[68:69], 2.0, -v[0:1]
	v_fma_f64 v[12:13], v[70:71], 2.0, -v[18:19]
	;; [unrolled: 1-line block ×5, first 2 shown]
	v_add_f64 v[56:57], v[76:77], -v[80:81]
	v_fma_f64 v[66:67], v[38:39], s[4:5], v[28:29]
	v_fma_f64 v[68:69], v[36:37], s[10:11], v[30:31]
	v_add_f64 v[70:71], v[44:45], -v[74:75]
	v_add_f64 v[72:73], v[72:73], v[46:47]
	v_fma_f64 v[74:75], v[52:53], s[4:5], v[40:41]
	v_fma_f64 v[80:81], v[54:55], s[10:11], v[42:43]
	v_fma_f64 v[14:15], v[58:59], 2.0, -v[60:61]
	s_mov_b32 s2, 0xcf328d46
	v_fma_f64 v[36:37], v[32:33], 2.0, -v[66:67]
	v_fma_f64 v[32:33], v[34:35], 2.0, -v[68:69]
	;; [unrolled: 1-line block ×6, first 2 shown]
	s_mov_b32 s14, 0xa6aea964
	s_mov_b32 s3, 0xbfed906b
	;; [unrolled: 1-line block ×3, first 2 shown]
	v_add_f64 v[58:59], v[78:79], -v[82:83]
	v_fma_f64 v[34:35], v[36:37], s[2:3], v[8:9]
	v_fma_f64 v[46:47], v[32:33], s[2:3], v[16:17]
	;; [unrolled: 1-line block ×6, first 2 shown]
	s_mov_b32 s17, 0x3fd87de2
	s_mov_b32 s16, s14
	;; [unrolled: 1-line block ×4, first 2 shown]
	v_fma_f64 v[28:29], v[76:77], 2.0, -v[56:57]
	v_fma_f64 v[30:31], v[78:79], 2.0, -v[58:59]
	v_fma_f64 v[32:33], v[32:33], s[14:15], v[34:35]
	v_fma_f64 v[34:35], v[36:37], s[16:17], v[46:47]
	;; [unrolled: 1-line block ×12, first 2 shown]
	v_add_f64 v[28:29], v[6:7], -v[28:29]
	v_add_f64 v[30:31], v[12:13], -v[30:31]
	;; [unrolled: 1-line block ×3, first 2 shown]
	v_add_f64 v[42:43], v[18:19], v[56:57]
	v_fma_f64 v[48:49], v[68:69], s[2:3], v[48:49]
	v_fma_f64 v[50:51], v[66:67], s[18:19], v[50:51]
	;; [unrolled: 1-line block ×6, first 2 shown]
	v_lshlrev_b32_e32 v125, 4, v65
	s_barrier
	s_and_saveexec_b64 s[2:3], vcc
	s_cbranch_execz .LBB0_7
; %bb.6:
	v_fma_f64 v[79:80], v[12:13], 2.0, -v[30:31]
	v_fma_f64 v[77:78], v[6:7], 2.0, -v[28:29]
	;; [unrolled: 1-line block ×16, first 2 shown]
	v_lshl_or_b32 v0, v117, 8, v125
	ds_write_b128 v0, v[77:80]
	ds_write_b128 v0, v[73:76] offset:16
	ds_write_b128 v0, v[69:72] offset:32
	;; [unrolled: 1-line block ×15, first 2 shown]
.LBB0_7:
	s_or_b64 exec, exec, s[2:3]
	v_mov_b32_e32 v0, s8
	s_movk_i32 s14, 0x70
	v_mov_b32_e32 v1, s9
	v_mad_u64_u32 v[80:81], s[8:9], v117, s14, v[0:1]
	v_lshlrev_b32_e32 v124, 4, v64
	s_load_dwordx4 s[0:3], s[0:1], 0x0
	s_waitcnt lgkmcnt(0)
	s_barrier
	ds_read_b128 v[60:63], v124
	ds_read_b128 v[12:15], v124 offset:256
	ds_read_b128 v[16:19], v124 offset:512
	;; [unrolled: 1-line block ×7, first 2 shown]
	global_load_dwordx4 v[0:3], v[80:81], off offset:48
	global_load_dwordx4 v[4:7], v[80:81], off offset:32
	;; [unrolled: 1-line block ×3, first 2 shown]
	global_load_dwordx4 v[20:23], v[80:81], off
	s_waitcnt vmcnt(0) lgkmcnt(6)
	v_mul_f64 v[82:83], v[14:15], v[22:23]
	v_fma_f64 v[82:83], v[12:13], v[20:21], -v[82:83]
	v_mul_f64 v[12:13], v[12:13], v[22:23]
	v_fma_f64 v[84:85], v[14:15], v[20:21], v[12:13]
	s_waitcnt lgkmcnt(5)
	v_mul_f64 v[12:13], v[18:19], v[10:11]
	v_fma_f64 v[86:87], v[16:17], v[8:9], -v[12:13]
	v_mul_f64 v[12:13], v[16:17], v[10:11]
	v_fma_f64 v[88:89], v[18:19], v[8:9], v[12:13]
	s_waitcnt lgkmcnt(4)
	;; [unrolled: 5-line block ×3, first 2 shown]
	v_mul_f64 v[12:13], v[66:67], v[2:3]
	v_fma_f64 v[94:95], v[64:65], v[0:1], -v[12:13]
	v_mul_f64 v[12:13], v[64:65], v[2:3]
	v_fma_f64 v[64:65], v[66:67], v[0:1], v[12:13]
	global_load_dwordx4 v[12:15], v[80:81], off offset:96
	global_load_dwordx4 v[16:19], v[80:81], off offset:80
	;; [unrolled: 1-line block ×3, first 2 shown]
	v_add_f64 v[64:65], v[62:63], -v[64:65]
	v_fma_f64 v[62:63], v[62:63], 2.0, -v[64:65]
	s_waitcnt vmcnt(0) lgkmcnt(2)
	v_mul_f64 v[66:67], v[70:71], v[26:27]
	v_fma_f64 v[66:67], v[68:69], v[24:25], -v[66:67]
	v_mul_f64 v[68:69], v[68:69], v[26:27]
	v_add_f64 v[66:67], v[82:83], -v[66:67]
	v_fma_f64 v[68:69], v[70:71], v[24:25], v[68:69]
	s_waitcnt lgkmcnt(1)
	v_mul_f64 v[70:71], v[74:75], v[18:19]
	v_fma_f64 v[82:83], v[82:83], 2.0, -v[66:67]
	v_add_f64 v[68:69], v[84:85], -v[68:69]
	v_fma_f64 v[70:71], v[72:73], v[16:17], -v[70:71]
	v_mul_f64 v[72:73], v[72:73], v[18:19]
	v_fma_f64 v[84:85], v[84:85], 2.0, -v[68:69]
	v_add_f64 v[70:71], v[86:87], -v[70:71]
	v_fma_f64 v[72:73], v[74:75], v[16:17], v[72:73]
	s_waitcnt lgkmcnt(0)
	v_mul_f64 v[74:75], v[78:79], v[14:15]
	v_fma_f64 v[80:81], v[86:87], 2.0, -v[70:71]
	v_add_f64 v[72:73], v[88:89], -v[72:73]
	v_fma_f64 v[74:75], v[76:77], v[12:13], -v[74:75]
	v_mul_f64 v[76:77], v[76:77], v[14:15]
	v_add_f64 v[96:97], v[64:65], v[70:71]
	v_fma_f64 v[86:87], v[88:89], 2.0, -v[72:73]
	v_add_f64 v[74:75], v[90:91], -v[74:75]
	v_fma_f64 v[76:77], v[78:79], v[12:13], v[76:77]
	v_add_f64 v[78:79], v[60:61], -v[94:95]
	v_fma_f64 v[64:65], v[64:65], 2.0, -v[96:97]
	v_add_f64 v[86:87], v[62:63], -v[86:87]
	v_fma_f64 v[88:89], v[90:91], 2.0, -v[74:75]
	v_add_f64 v[76:77], v[92:93], -v[76:77]
	v_add_f64 v[94:95], v[78:79], -v[72:73]
	v_fma_f64 v[60:61], v[60:61], 2.0, -v[78:79]
	v_fma_f64 v[62:63], v[62:63], 2.0, -v[86:87]
	;; [unrolled: 1-line block ×4, first 2 shown]
	v_add_f64 v[78:79], v[82:83], -v[88:89]
	v_add_f64 v[92:93], v[60:61], -v[80:81]
	;; [unrolled: 1-line block ×3, first 2 shown]
	v_add_f64 v[90:91], v[68:69], v[74:75]
	v_fma_f64 v[70:71], v[82:83], 2.0, -v[78:79]
	v_fma_f64 v[60:61], v[60:61], 2.0, -v[92:93]
	v_add_f64 v[78:79], v[86:87], v[78:79]
	v_fma_f64 v[80:81], v[84:85], 2.0, -v[88:89]
	v_add_f64 v[84:85], v[66:67], -v[76:77]
	v_fma_f64 v[74:75], v[68:69], 2.0, -v[90:91]
	v_add_f64 v[68:69], v[60:61], -v[70:71]
	v_add_f64 v[70:71], v[62:63], -v[80:81]
	v_fma_f64 v[66:67], v[66:67], 2.0, -v[84:85]
	v_fma_f64 v[82:83], v[74:75], s[4:5], v[64:65]
	v_fma_f64 v[60:61], v[60:61], 2.0, -v[68:69]
	v_fma_f64 v[62:63], v[62:63], 2.0, -v[70:71]
	v_fma_f64 v[76:77], v[66:67], s[4:5], v[72:73]
	v_fma_f64 v[82:83], v[66:67], s[10:11], v[82:83]
	v_fma_f64 v[66:67], v[86:87], 2.0, -v[78:79]
	v_fma_f64 v[86:87], v[84:85], s[10:11], v[94:95]
	v_fma_f64 v[80:81], v[74:75], s[4:5], v[76:77]
	v_add_f64 v[76:77], v[92:93], -v[88:89]
	v_fma_f64 v[74:75], v[64:65], 2.0, -v[82:83]
	v_fma_f64 v[88:89], v[90:91], s[4:5], v[86:87]
	v_fma_f64 v[72:73], v[72:73], 2.0, -v[80:81]
	v_fma_f64 v[64:65], v[92:93], 2.0, -v[76:77]
	v_fma_f64 v[92:93], v[90:91], s[10:11], v[96:97]
	v_fma_f64 v[90:91], v[84:85], s[10:11], v[92:93]
	v_fma_f64 v[84:85], v[94:95], 2.0, -v[88:89]
	v_fma_f64 v[86:87], v[96:97], 2.0, -v[90:91]
	ds_write_b128 v124, v[60:63]
	ds_write_b128 v124, v[72:75] offset:256
	ds_write_b128 v124, v[64:67] offset:512
	;; [unrolled: 1-line block ×7, first 2 shown]
	s_waitcnt lgkmcnt(0)
	s_barrier
	s_and_saveexec_b64 s[4:5], vcc
	s_cbranch_execz .LBB0_9
; %bb.8:
	global_load_dwordx4 v[104:107], v119, s[6:7] offset:2048
	s_add_u32 s8, s6, 0x800
	s_addc_u32 s9, s7, 0
	global_load_dwordx4 v[92:95], v119, s[8:9] offset:128
	global_load_dwordx4 v[96:99], v119, s[8:9] offset:256
	;; [unrolled: 1-line block ×15, first 2 shown]
	ds_read_b128 v[166:169], v124
	s_waitcnt vmcnt(15) lgkmcnt(0)
	v_mul_f64 v[170:171], v[168:169], v[106:107]
	v_mul_f64 v[106:107], v[166:167], v[106:107]
	v_fma_f64 v[166:167], v[166:167], v[104:105], -v[170:171]
	v_fma_f64 v[168:169], v[168:169], v[104:105], v[106:107]
	ds_write_b128 v124, v[166:169]
	ds_read_b128 v[104:107], v118 offset:128
	ds_read_b128 v[166:169], v118 offset:256
	;; [unrolled: 1-line block ×15, first 2 shown]
	s_waitcnt vmcnt(14) lgkmcnt(14)
	v_mul_f64 v[222:223], v[106:107], v[94:95]
	v_mul_f64 v[94:95], v[104:105], v[94:95]
	s_waitcnt vmcnt(13) lgkmcnt(13)
	v_mul_f64 v[224:225], v[168:169], v[98:99]
	v_mul_f64 v[98:99], v[166:167], v[98:99]
	;; [unrolled: 3-line block ×15, first 2 shown]
	v_fma_f64 v[102:103], v[104:105], v[92:93], -v[222:223]
	v_fma_f64 v[104:105], v[106:107], v[92:93], v[94:95]
	v_fma_f64 v[92:93], v[166:167], v[96:97], -v[224:225]
	v_fma_f64 v[94:95], v[168:169], v[96:97], v[98:99]
	;; [unrolled: 2-line block ×15, first 2 shown]
	ds_write_b128 v118, v[102:105] offset:128
	ds_write_b128 v118, v[92:95] offset:256
	;; [unrolled: 1-line block ×15, first 2 shown]
.LBB0_9:
	s_or_b64 exec, exec, s[4:5]
	s_waitcnt lgkmcnt(0)
	s_barrier
	s_and_saveexec_b64 s[4:5], vcc
	s_cbranch_execz .LBB0_11
; %bb.10:
	ds_read_b128 v[60:63], v124
	ds_read_b128 v[72:75], v124 offset:128
	ds_read_b128 v[64:67], v124 offset:256
	;; [unrolled: 1-line block ×15, first 2 shown]
.LBB0_11:
	s_or_b64 exec, exec, s[4:5]
	s_waitcnt lgkmcnt(0)
	s_barrier
	s_and_saveexec_b64 s[4:5], vcc
	s_cbranch_execz .LBB0_13
; %bb.12:
	v_add_f64 v[38:39], v[66:67], -v[38:39]
	v_add_f64 v[52:53], v[76:77], -v[52:53]
	;; [unrolled: 1-line block ×18, first 2 shown]
	s_mov_b32 s8, 0x667f3bcd
	s_mov_b32 s9, 0x3fe6a09e
	v_add_f64 v[50:51], v[46:47], -v[56:57]
	v_add_f64 v[100:101], v[94:95], -v[48:49]
	v_fma_f64 v[30:31], v[96:97], s[8:9], v[98:99]
	v_add_f64 v[102:103], v[54:55], v[36:37]
	v_add_f64 v[104:105], v[58:59], v[44:45]
	;; [unrolled: 1-line block ×4, first 2 shown]
	v_fma_f64 v[62:63], v[62:63], 2.0, -v[92:93]
	v_fma_f64 v[42:43], v[70:71], 2.0, -v[42:43]
	;; [unrolled: 1-line block ×8, first 2 shown]
	s_mov_b32 s11, 0xbfe6a09e
	s_mov_b32 s10, s8
	v_fma_f64 v[110:111], v[102:103], s[10:11], v[30:31]
	v_fma_f64 v[30:31], v[104:105], s[8:9], v[106:107]
	v_add_f64 v[84:85], v[62:63], -v[42:43]
	v_add_f64 v[42:43], v[64:65], -v[52:53]
	;; [unrolled: 1-line block ×4, first 2 shown]
	v_fma_f64 v[74:75], v[86:87], 2.0, -v[46:47]
	v_fma_f64 v[58:59], v[90:91], 2.0, -v[58:59]
	;; [unrolled: 1-line block ×8, first 2 shown]
	v_fma_f64 v[108:109], v[50:51], s[8:9], v[100:101]
	v_fma_f64 v[112:113], v[50:51], s[8:9], v[30:31]
	;; [unrolled: 1-line block ×3, first 2 shown]
	v_add_f64 v[80:81], v[84:85], -v[42:43]
	v_add_f64 v[88:89], v[52:53], -v[56:57]
	;; [unrolled: 1-line block ×4, first 2 shown]
	v_fma_f64 v[38:39], v[66:67], 2.0, -v[38:39]
	v_fma_f64 v[50:51], v[78:79], 2.0, -v[54:55]
	;; [unrolled: 1-line block ×4, first 2 shown]
	v_fma_f64 v[60:61], v[92:93], s[10:11], v[90:91]
	v_fma_f64 v[36:37], v[36:37], 2.0, -v[102:103]
	v_fma_f64 v[66:67], v[46:47], s[10:11], v[94:95]
	v_fma_f64 v[44:45], v[44:45], 2.0, -v[104:105]
	v_fma_f64 v[68:69], v[32:33], 2.0, -v[106:107]
	;; [unrolled: 1-line block ×3, first 2 shown]
	v_fma_f64 v[82:83], v[96:97], s[8:9], v[126:127]
	v_fma_f64 v[32:33], v[88:89], s[8:9], v[80:81]
	v_add_f64 v[50:51], v[38:39], -v[50:51]
	v_add_f64 v[96:97], v[58:59], v[48:49]
	v_add_f64 v[102:103], v[54:55], -v[40:41]
	v_fma_f64 v[60:61], v[36:37], s[10:11], v[60:61]
	v_fma_f64 v[66:67], v[44:45], s[10:11], v[66:67]
	v_fma_f64 v[40:41], v[44:45], s[10:11], v[68:69]
	v_fma_f64 v[36:37], v[36:37], s[10:11], v[78:79]
	s_mov_b32 s14, 0xcf328d46
	s_mov_b32 s16, 0xa6aea964
	s_mov_b32 s15, 0x3fed906b
	s_mov_b32 s17, 0xbfd87de2
	s_mov_b32 s19, 0x3fd87de2
	s_mov_b32 s18, s16
	v_fma_f64 v[108:109], v[104:105], s[10:11], v[108:109]
	v_fma_f64 v[86:87], v[112:113], s[14:15], v[82:83]
	v_fma_f64 v[62:63], v[62:63], 2.0, -v[84:85]
	v_fma_f64 v[44:45], v[38:39], 2.0, -v[50:51]
	;; [unrolled: 1-line block ×4, first 2 shown]
	v_fma_f64 v[38:39], v[96:97], s[10:11], v[32:33]
	v_fma_f64 v[32:33], v[66:67], s[18:19], v[60:61]
	;; [unrolled: 1-line block ×4, first 2 shown]
	v_add_f64 v[104:105], v[102:103], v[50:51]
	v_fma_f64 v[126:127], v[54:55], 2.0, -v[102:103]
	v_fma_f64 v[36:37], v[64:65], 2.0, -v[42:43]
	;; [unrolled: 1-line block ×4, first 2 shown]
	s_mov_b32 s21, 0xbfed906b
	s_mov_b32 s20, s14
	v_fma_f64 v[28:29], v[108:109], s[18:19], v[86:87]
	v_add_f64 v[86:87], v[62:63], -v[44:45]
	v_add_f64 v[56:57], v[72:73], -v[56:57]
	v_fma_f64 v[42:43], v[76:77], s[20:21], v[32:33]
	v_fma_f64 v[58:59], v[76:77], s[18:19], v[92:93]
	;; [unrolled: 1-line block ×3, first 2 shown]
	v_add_f64 v[128:129], v[126:127], -v[36:37]
	v_add_f64 v[70:71], v[64:65], -v[40:41]
	v_fma_f64 v[98:99], v[98:99], 2.0, -v[110:111]
	v_fma_f64 v[100:101], v[100:101], 2.0, -v[108:109]
	v_add_f64 v[46:47], v[86:87], -v[56:57]
	v_fma_f64 v[50:51], v[80:81], 2.0, -v[38:39]
	v_fma_f64 v[54:55], v[60:61], 2.0, -v[42:43]
	;; [unrolled: 1-line block ×10, first 2 shown]
	v_fma_f64 v[40:41], v[66:67], s[14:15], v[58:59]
	v_fma_f64 v[66:67], v[106:107], 2.0, -v[112:113]
	v_fma_f64 v[94:95], v[114:115], 2.0, -v[82:83]
	v_fma_f64 v[36:37], v[88:89], s[8:9], v[44:45]
	v_fma_f64 v[74:75], v[100:101], s[16:17], v[98:99]
	v_fma_f64 v[88:89], v[62:63], 2.0, -v[86:87]
	v_fma_f64 v[64:65], v[64:65], 2.0, -v[70:71]
	;; [unrolled: 1-line block ×6, first 2 shown]
	v_fma_f64 v[82:83], v[60:61], s[20:21], v[84:85]
	v_fma_f64 v[86:87], v[68:69], s[20:21], v[76:77]
	v_fma_f64 v[78:79], v[52:53], s[10:11], v[80:81]
	v_fma_f64 v[90:91], v[48:49], s[10:11], v[96:97]
	v_fma_f64 v[106:107], v[66:67], s[16:17], v[94:95]
	v_fma_f64 v[30:31], v[108:109], s[14:15], v[110:111]
	v_fma_f64 v[62:63], v[66:67], s[20:21], v[74:75]
	v_add_f64 v[74:75], v[88:89], -v[64:65]
	v_add_f64 v[72:73], v[102:103], -v[56:57]
	v_add_f64 v[44:45], v[128:129], v[70:71]
	v_fma_f64 v[70:71], v[68:69], s[16:17], v[82:83]
	v_fma_f64 v[68:69], v[60:61], s[18:19], v[86:87]
	;; [unrolled: 1-line block ×6, first 2 shown]
	v_fma_f64 v[90:91], v[88:89], 2.0, -v[74:75]
	v_fma_f64 v[88:89], v[102:103], 2.0, -v[72:73]
	;; [unrolled: 1-line block ×12, first 2 shown]
	v_lshl_or_b32 v92, v117, 8, v125
	ds_write_b128 v92, v[88:91]
	ds_write_b128 v92, v[84:87] offset:16
	ds_write_b128 v92, v[80:83] offset:32
	;; [unrolled: 1-line block ×15, first 2 shown]
.LBB0_13:
	s_or_b64 exec, exec, s[4:5]
	s_waitcnt lgkmcnt(0)
	s_barrier
	ds_read_b128 v[28:31], v124
	ds_read_b128 v[32:35], v124 offset:256
	ds_read_b128 v[36:39], v124 offset:512
	;; [unrolled: 1-line block ×5, first 2 shown]
	s_waitcnt lgkmcnt(4)
	v_mul_f64 v[60:61], v[22:23], v[34:35]
	v_mul_f64 v[22:23], v[22:23], v[32:33]
	s_waitcnt lgkmcnt(3)
	v_mul_f64 v[62:63], v[10:11], v[38:39]
	v_mul_f64 v[10:11], v[10:11], v[36:37]
	;; [unrolled: 3-line block ×3, first 2 shown]
	ds_read_b128 v[52:55], v124 offset:1536
	ds_read_b128 v[56:59], v124 offset:1792
	s_mov_b32 s4, 0x667f3bcd
	v_fma_f64 v[32:33], v[20:21], v[32:33], v[60:61]
	v_fma_f64 v[20:21], v[20:21], v[34:35], -v[22:23]
	v_fma_f64 v[22:23], v[8:9], v[36:37], v[62:63]
	v_fma_f64 v[8:9], v[8:9], v[38:39], -v[10:11]
	;; [unrolled: 2-line block ×3, first 2 shown]
	s_waitcnt lgkmcnt(3)
	v_mul_f64 v[6:7], v[2:3], v[46:47]
	v_mul_f64 v[2:3], v[2:3], v[44:45]
	s_waitcnt lgkmcnt(1)
	v_mul_f64 v[34:35], v[18:19], v[54:55]
	v_mul_f64 v[18:19], v[18:19], v[52:53]
	;; [unrolled: 1-line block ×4, first 2 shown]
	s_waitcnt lgkmcnt(0)
	v_mul_f64 v[38:39], v[14:15], v[58:59]
	v_mul_f64 v[14:15], v[14:15], v[56:57]
	v_fma_f64 v[6:7], v[0:1], v[44:45], v[6:7]
	v_fma_f64 v[0:1], v[0:1], v[46:47], -v[2:3]
	v_fma_f64 v[2:3], v[16:17], v[52:53], v[34:35]
	v_fma_f64 v[16:17], v[16:17], v[54:55], -v[18:19]
	;; [unrolled: 2-line block ×4, first 2 shown]
	v_add_f64 v[6:7], v[28:29], -v[6:7]
	v_add_f64 v[0:1], v[30:31], -v[0:1]
	v_add_f64 v[2:3], v[22:23], -v[2:3]
	v_add_f64 v[14:15], v[8:9], -v[16:17]
	v_add_f64 v[16:17], v[32:33], -v[18:19]
	v_add_f64 v[18:19], v[20:21], -v[24:25]
	v_add_f64 v[24:25], v[10:11], -v[26:27]
	v_add_f64 v[12:13], v[4:5], -v[12:13]
	v_fma_f64 v[26:27], v[28:29], 2.0, -v[6:7]
	v_fma_f64 v[28:29], v[30:31], 2.0, -v[0:1]
	;; [unrolled: 1-line block ×8, first 2 shown]
	v_add_f64 v[32:33], v[6:7], v[14:15]
	v_add_f64 v[34:35], v[0:1], -v[2:3]
	v_add_f64 v[14:15], v[16:17], v[12:13]
	v_add_f64 v[12:13], v[18:19], -v[24:25]
	v_add_f64 v[24:25], v[26:27], -v[22:23]
	;; [unrolled: 1-line block ×5, first 2 shown]
	v_fma_f64 v[22:23], v[6:7], 2.0, -v[32:33]
	v_fma_f64 v[38:39], v[0:1], 2.0, -v[34:35]
	;; [unrolled: 1-line block ×8, first 2 shown]
	s_mov_b32 s5, 0xbfe6a09e
	s_mov_b32 s9, 0x3fe6a09e
	v_fma_f64 v[20:21], v[6:7], s[4:5], v[22:23]
	v_fma_f64 v[26:27], v[4:5], s[4:5], v[38:39]
	s_mov_b32 s8, s4
	v_fma_f64 v[28:29], v[14:15], s[8:9], v[32:33]
	v_fma_f64 v[30:31], v[12:13], s[8:9], v[34:35]
	v_add_f64 v[0:1], v[16:17], -v[0:1]
	v_add_f64 v[2:3], v[18:19], -v[2:3]
	v_add_f64 v[8:9], v[24:25], v[8:9]
	v_fma_f64 v[4:5], v[4:5], s[8:9], v[20:21]
	v_fma_f64 v[6:7], v[6:7], s[4:5], v[26:27]
	v_add_f64 v[10:11], v[36:37], -v[10:11]
	v_fma_f64 v[12:13], v[12:13], s[8:9], v[28:29]
	v_fma_f64 v[14:15], v[14:15], s[4:5], v[30:31]
	v_fma_f64 v[16:17], v[16:17], 2.0, -v[0:1]
	v_fma_f64 v[18:19], v[18:19], 2.0, -v[2:3]
	;; [unrolled: 1-line block ×8, first 2 shown]
	ds_write_b128 v124, v[16:19]
	ds_write_b128 v124, v[20:23] offset:256
	ds_write_b128 v124, v[24:27] offset:512
	ds_write_b128 v124, v[28:31] offset:768
	ds_write_b128 v124, v[0:3] offset:1024
	ds_write_b128 v124, v[4:7] offset:1280
	ds_write_b128 v124, v[8:11] offset:1536
	ds_write_b128 v124, v[12:15] offset:1792
	s_waitcnt lgkmcnt(0)
	s_barrier
	s_and_b64 exec, exec, vcc
	s_cbranch_execz .LBB0_15
; %bb.14:
	global_load_dwordx4 v[0:3], v119, s[6:7]
	global_load_dwordx4 v[4:7], v119, s[6:7] offset:128
	global_load_dwordx4 v[8:11], v119, s[6:7] offset:256
	;; [unrolled: 1-line block ×4, first 2 shown]
	ds_read_b128 v[20:23], v124
	ds_read_b128 v[24:27], v118 offset:128
	ds_read_b128 v[28:31], v118 offset:256
	global_load_dwordx4 v[32:35], v119, s[6:7] offset:640
	ds_read_b128 v[36:39], v118 offset:384
	ds_read_b128 v[40:43], v118 offset:512
	;; [unrolled: 1-line block ×4, first 2 shown]
	global_load_dwordx4 v[52:55], v119, s[6:7] offset:768
	global_load_dwordx4 v[56:59], v119, s[6:7] offset:896
	global_load_dwordx4 v[60:63], v119, s[6:7] offset:1024
	global_load_dwordx4 v[64:67], v119, s[6:7] offset:1152
	global_load_dwordx4 v[68:71], v119, s[6:7] offset:1280
	v_mad_u64_u32 v[72:73], s[4:5], s2, v116, 0
	v_mad_u64_u32 v[74:75], s[4:5], s0, v117, 0
	;; [unrolled: 1-line block ×8, first 2 shown]
	v_mov_b32_e32 v73, v80
	v_lshlrev_b64 v[72:73], 4, v[72:73]
	v_mov_b32_e32 v75, v81
	v_mov_b32_e32 v77, v82
	v_mov_b32_e32 v79, v83
	v_mov_b32_e32 v85, s13
	v_add_co_u32_e32 v91, vcc, s12, v72
	v_addc_co_u32_e32 v92, vcc, v85, v73, vcc
	v_lshlrev_b64 v[74:75], 4, v[74:75]
	v_lshlrev_b64 v[76:77], 4, v[76:77]
	v_add_co_u32_e32 v72, vcc, v91, v74
	v_addc_co_u32_e32 v73, vcc, v92, v75, vcc
	v_lshlrev_b64 v[78:79], 4, v[78:79]
	v_add_co_u32_e32 v74, vcc, v91, v76
	v_addc_co_u32_e32 v75, vcc, v92, v77, vcc
	v_add_co_u32_e32 v76, vcc, v91, v78
	s_lshl_b64 s[4:5], s[0:1], 8
	v_addc_co_u32_e32 v77, vcc, v92, v79, vcc
	v_mov_b32_e32 v90, s5
	v_add_co_u32_e32 v78, vcc, s4, v72
	v_addc_co_u32_e32 v79, vcc, v73, v90, vcc
	s_waitcnt vmcnt(10) lgkmcnt(6)
	v_mul_f64 v[80:81], v[22:23], v[2:3]
	v_mul_f64 v[2:3], v[20:21], v[2:3]
	s_waitcnt vmcnt(9) lgkmcnt(5)
	v_mul_f64 v[82:83], v[26:27], v[6:7]
	v_mul_f64 v[6:7], v[24:25], v[6:7]
	;; [unrolled: 3-line block ×4, first 2 shown]
	v_fma_f64 v[20:21], v[20:21], v[0:1], v[80:81]
	v_fma_f64 v[2:3], v[0:1], v[22:23], -v[2:3]
	v_fma_f64 v[22:23], v[24:25], v[4:5], v[82:83]
	v_fma_f64 v[6:7], v[4:5], v[26:27], -v[6:7]
	;; [unrolled: 2-line block ×4, first 2 shown]
	s_waitcnt vmcnt(6) lgkmcnt(2)
	v_mul_f64 v[88:89], v[42:43], v[18:19]
	v_mul_f64 v[18:19], v[40:41], v[18:19]
	v_ldexp_f64 v[0:1], v[20:21], -7
	v_ldexp_f64 v[2:3], v[2:3], -7
	;; [unrolled: 1-line block ×3, first 2 shown]
	s_waitcnt vmcnt(5) lgkmcnt(1)
	v_mul_f64 v[20:21], v[46:47], v[34:35]
	v_mul_f64 v[22:23], v[44:45], v[34:35]
	v_ldexp_f64 v[6:7], v[6:7], -7
	v_ldexp_f64 v[8:9], v[24:25], -7
	;; [unrolled: 1-line block ×5, first 2 shown]
	v_fma_f64 v[28:29], v[40:41], v[16:17], v[88:89]
	v_fma_f64 v[18:19], v[16:17], v[42:43], -v[18:19]
	global_store_dwordx4 v[72:73], v[0:3], off
	global_store_dwordx4 v[74:75], v[4:7], off
	;; [unrolled: 1-line block ×4, first 2 shown]
	v_mad_u64_u32 v[4:5], s[2:3], s0, v121, 0
	v_fma_f64 v[0:1], v[44:45], v[32:33], v[20:21]
	v_fma_f64 v[2:3], v[32:33], v[46:47], -v[22:23]
	v_mad_u64_u32 v[5:6], s[2:3], s1, v121, v[5:6]
	v_ldexp_f64 v[16:17], v[28:29], -7
	v_ldexp_f64 v[18:19], v[18:19], -7
	s_waitcnt vmcnt(8) lgkmcnt(0)
	v_mul_f64 v[8:9], v[50:51], v[54:55]
	v_mul_f64 v[10:11], v[48:49], v[54:55]
	v_ldexp_f64 v[0:1], v[0:1], -7
	v_ldexp_f64 v[2:3], v[2:3], -7
	v_lshlrev_b64 v[12:13], 4, v[4:5]
	global_load_dwordx4 v[4:7], v119, s[6:7] offset:1408
	v_add_co_u32_e32 v24, vcc, s4, v78
	v_addc_co_u32_e32 v25, vcc, v79, v90, vcc
	v_add_co_u32_e32 v12, vcc, v91, v12
	v_addc_co_u32_e32 v13, vcc, v92, v13, vcc
	global_store_dwordx4 v[24:25], v[16:19], off
	v_fma_f64 v[8:9], v[48:49], v[52:53], v[8:9]
	v_fma_f64 v[10:11], v[52:53], v[50:51], -v[10:11]
	global_store_dwordx4 v[12:13], v[0:3], off
	global_load_dwordx4 v[12:15], v119, s[6:7] offset:1536
	ds_read_b128 v[0:3], v118 offset:896
	ds_read_b128 v[16:19], v118 offset:1024
	v_add_co_u32_e32 v28, vcc, s4, v24
	v_ldexp_f64 v[8:9], v[8:9], -7
	s_waitcnt vmcnt(11) lgkmcnt(1)
	v_mul_f64 v[20:21], v[2:3], v[58:59]
	v_mul_f64 v[22:23], v[0:1], v[58:59]
	v_ldexp_f64 v[10:11], v[10:11], -7
	v_addc_co_u32_e32 v29, vcc, v25, v90, vcc
	v_mad_u64_u32 v[24:25], s[2:3], s0, v120, 0
	v_or_b32_e32 v42, 0x48, v117
	v_fma_f64 v[0:1], v[0:1], v[56:57], v[20:21]
	v_fma_f64 v[2:3], v[56:57], v[2:3], -v[22:23]
	global_store_dwordx4 v[28:29], v[8:11], off
	s_waitcnt vmcnt(11) lgkmcnt(0)
	v_mul_f64 v[20:21], v[18:19], v[62:63]
	v_mov_b32_e32 v8, v25
	v_mad_u64_u32 v[25:26], s[2:3], s1, v120, v[8:9]
	global_load_dwordx4 v[8:11], v119, s[6:7] offset:1664
	v_mul_f64 v[22:23], v[16:17], v[62:63]
	v_ldexp_f64 v[0:1], v[0:1], -7
	v_ldexp_f64 v[2:3], v[2:3], -7
	v_lshlrev_b64 v[24:25], 4, v[24:25]
	v_fma_f64 v[16:17], v[16:17], v[60:61], v[20:21]
	v_add_co_u32_e32 v20, vcc, v91, v24
	v_addc_co_u32_e32 v21, vcc, v92, v25, vcc
	v_fma_f64 v[18:19], v[60:61], v[18:19], -v[22:23]
	global_store_dwordx4 v[20:21], v[0:3], off
	global_load_dwordx4 v[20:23], v119, s[6:7] offset:1792
	ds_read_b128 v[0:3], v118 offset:1152
	ds_read_b128 v[24:27], v118 offset:1280
	v_add_co_u32_e32 v36, vcc, s4, v28
	v_addc_co_u32_e32 v37, vcc, v29, v90, vcc
	global_load_dwordx4 v[28:31], v119, s[6:7] offset:1920
	s_waitcnt vmcnt(14) lgkmcnt(1)
	v_mul_f64 v[32:33], v[2:3], v[66:67]
	v_mul_f64 v[34:35], v[0:1], v[66:67]
	v_mad_u64_u32 v[38:39], s[2:3], s0, v42, 0
	v_ldexp_f64 v[16:17], v[16:17], -7
	v_ldexp_f64 v[18:19], v[18:19], -7
	s_waitcnt vmcnt(13) lgkmcnt(0)
	v_mul_f64 v[40:41], v[24:25], v[70:71]
	v_fma_f64 v[0:1], v[0:1], v[64:65], v[32:33]
	v_fma_f64 v[2:3], v[64:65], v[2:3], -v[34:35]
	v_mul_f64 v[33:34], v[26:27], v[70:71]
	v_mov_b32_e32 v32, v39
	global_store_dwordx4 v[36:37], v[16:19], off
	v_ldexp_f64 v[0:1], v[0:1], -7
	v_ldexp_f64 v[2:3], v[2:3], -7
	v_mad_u64_u32 v[42:43], s[2:3], s1, v42, v[32:33]
	v_fma_f64 v[18:19], v[24:25], v[68:69], v[33:34]
	v_fma_f64 v[24:25], v[68:69], v[26:27], -v[40:41]
	v_mov_b32_e32 v39, v42
	v_lshlrev_b64 v[16:17], 4, v[38:39]
	v_or_b32_e32 v38, 0x58, v117
	v_add_co_u32_e32 v16, vcc, v91, v16
	v_addc_co_u32_e32 v17, vcc, v92, v17, vcc
	global_store_dwordx4 v[16:17], v[0:3], off
	ds_read_b128 v[0:3], v118 offset:1408
	v_ldexp_f64 v[16:17], v[18:19], -7
	v_ldexp_f64 v[18:19], v[24:25], -7
	ds_read_b128 v[24:27], v118 offset:1536
	v_mad_u64_u32 v[34:35], s[2:3], s0, v38, 0
	s_waitcnt vmcnt(10) lgkmcnt(1)
	v_mul_f64 v[32:33], v[2:3], v[6:7]
	v_mul_f64 v[6:7], v[0:1], v[6:7]
	v_add_co_u32_e32 v36, vcc, s4, v36
	v_addc_co_u32_e32 v37, vcc, v37, v90, vcc
	global_store_dwordx4 v[36:37], v[16:19], off
	v_fma_f64 v[0:1], v[0:1], v[4:5], v[32:33]
	v_fma_f64 v[2:3], v[4:5], v[2:3], -v[6:7]
	s_waitcnt vmcnt(8) lgkmcnt(0)
	v_mul_f64 v[5:6], v[26:27], v[14:15]
	v_mul_f64 v[14:15], v[24:25], v[14:15]
	v_mov_b32_e32 v4, v35
	v_ldexp_f64 v[0:1], v[0:1], -7
	v_ldexp_f64 v[2:3], v[2:3], -7
	v_mad_u64_u32 v[32:33], s[2:3], s1, v38, v[4:5]
	v_fma_f64 v[18:19], v[24:25], v[12:13], v[5:6]
	v_fma_f64 v[12:13], v[12:13], v[26:27], -v[14:15]
	v_mov_b32_e32 v35, v32
	ds_read_b128 v[4:7], v118 offset:1664
	v_lshlrev_b64 v[16:17], 4, v[34:35]
	v_or_b32_e32 v26, 0x68, v117
	v_add_co_u32_e32 v14, vcc, v91, v16
	v_addc_co_u32_e32 v15, vcc, v92, v17, vcc
	global_store_dwordx4 v[14:15], v[0:3], off
	v_mad_u64_u32 v[24:25], s[2:3], s0, v26, 0
	v_ldexp_f64 v[2:3], v[12:13], -7
	ds_read_b128 v[12:15], v118 offset:1792
	s_waitcnt vmcnt(7) lgkmcnt(1)
	v_mul_f64 v[16:17], v[6:7], v[10:11]
	v_mul_f64 v[10:11], v[4:5], v[10:11]
	v_ldexp_f64 v[0:1], v[18:19], -7
	v_add_co_u32_e32 v18, vcc, s4, v36
	v_addc_co_u32_e32 v19, vcc, v37, v90, vcc
	v_fma_f64 v[4:5], v[4:5], v[8:9], v[16:17]
	v_fma_f64 v[6:7], v[8:9], v[6:7], -v[10:11]
	s_waitcnt vmcnt(5) lgkmcnt(0)
	v_mul_f64 v[8:9], v[14:15], v[22:23]
	v_mul_f64 v[10:11], v[12:13], v[22:23]
	global_store_dwordx4 v[18:19], v[0:3], off
	v_fma_f64 v[8:9], v[12:13], v[20:21], v[8:9]
	v_mov_b32_e32 v0, v25
	v_mad_u64_u32 v[16:17], s[2:3], s1, v26, v[0:1]
	v_ldexp_f64 v[0:1], v[4:5], -7
	v_ldexp_f64 v[2:3], v[6:7], -7
	ds_read_b128 v[4:7], v118 offset:1920
	v_fma_f64 v[10:11], v[20:21], v[14:15], -v[10:11]
	v_mov_b32_e32 v25, v16
	v_lshlrev_b64 v[16:17], 4, v[24:25]
	s_waitcnt vmcnt(5) lgkmcnt(0)
	v_mul_f64 v[12:13], v[6:7], v[30:31]
	v_mul_f64 v[14:15], v[4:5], v[30:31]
	v_add_co_u32_e32 v16, vcc, v91, v16
	v_addc_co_u32_e32 v17, vcc, v92, v17, vcc
	global_store_dwordx4 v[16:17], v[0:3], off
	v_or_b32_e32 v16, 0x78, v117
	v_fma_f64 v[4:5], v[4:5], v[28:29], v[12:13]
	v_fma_f64 v[6:7], v[28:29], v[6:7], -v[14:15]
	v_ldexp_f64 v[0:1], v[8:9], -7
	v_mad_u64_u32 v[8:9], s[2:3], s0, v16, 0
	v_ldexp_f64 v[2:3], v[10:11], -7
	v_add_co_u32_e32 v10, vcc, s4, v18
	v_mad_u64_u32 v[12:13], s[0:1], s1, v16, v[9:10]
	v_ldexp_f64 v[4:5], v[4:5], -7
	v_ldexp_f64 v[6:7], v[6:7], -7
	v_addc_co_u32_e32 v11, vcc, v19, v90, vcc
	v_mov_b32_e32 v9, v12
	global_store_dwordx4 v[10:11], v[0:3], off
	s_nop 0
	v_lshlrev_b64 v[0:1], 4, v[8:9]
	v_add_co_u32_e32 v0, vcc, v91, v0
	v_addc_co_u32_e32 v1, vcc, v92, v1, vcc
	global_store_dwordx4 v[0:1], v[4:7], off
.LBB0_15:
	s_endpgm
	.section	.rodata,"a",@progbits
	.p2align	6, 0x0
	.amdhsa_kernel bluestein_single_back_len128_dim1_dp_op_CI_CI
		.amdhsa_group_segment_fixed_size 32768
		.amdhsa_private_segment_fixed_size 0
		.amdhsa_kernarg_size 104
		.amdhsa_user_sgpr_count 6
		.amdhsa_user_sgpr_private_segment_buffer 1
		.amdhsa_user_sgpr_dispatch_ptr 0
		.amdhsa_user_sgpr_queue_ptr 0
		.amdhsa_user_sgpr_kernarg_segment_ptr 1
		.amdhsa_user_sgpr_dispatch_id 0
		.amdhsa_user_sgpr_flat_scratch_init 0
		.amdhsa_user_sgpr_private_segment_size 0
		.amdhsa_uses_dynamic_stack 0
		.amdhsa_system_sgpr_private_segment_wavefront_offset 0
		.amdhsa_system_sgpr_workgroup_id_x 1
		.amdhsa_system_sgpr_workgroup_id_y 0
		.amdhsa_system_sgpr_workgroup_id_z 0
		.amdhsa_system_sgpr_workgroup_info 0
		.amdhsa_system_vgpr_workitem_id 0
		.amdhsa_next_free_vgpr 256
		.amdhsa_next_free_sgpr 22
		.amdhsa_reserve_vcc 1
		.amdhsa_reserve_flat_scratch 0
		.amdhsa_float_round_mode_32 0
		.amdhsa_float_round_mode_16_64 0
		.amdhsa_float_denorm_mode_32 3
		.amdhsa_float_denorm_mode_16_64 3
		.amdhsa_dx10_clamp 1
		.amdhsa_ieee_mode 1
		.amdhsa_fp16_overflow 0
		.amdhsa_exception_fp_ieee_invalid_op 0
		.amdhsa_exception_fp_denorm_src 0
		.amdhsa_exception_fp_ieee_div_zero 0
		.amdhsa_exception_fp_ieee_overflow 0
		.amdhsa_exception_fp_ieee_underflow 0
		.amdhsa_exception_fp_ieee_inexact 0
		.amdhsa_exception_int_div_zero 0
	.end_amdhsa_kernel
	.text
.Lfunc_end0:
	.size	bluestein_single_back_len128_dim1_dp_op_CI_CI, .Lfunc_end0-bluestein_single_back_len128_dim1_dp_op_CI_CI
                                        ; -- End function
	.section	.AMDGPU.csdata,"",@progbits
; Kernel info:
; codeLenInByte = 9320
; NumSgprs: 26
; NumVgprs: 256
; ScratchSize: 0
; MemoryBound: 0
; FloatMode: 240
; IeeeMode: 1
; LDSByteSize: 32768 bytes/workgroup (compile time only)
; SGPRBlocks: 3
; VGPRBlocks: 63
; NumSGPRsForWavesPerEU: 26
; NumVGPRsForWavesPerEU: 256
; Occupancy: 1
; WaveLimiterHint : 1
; COMPUTE_PGM_RSRC2:SCRATCH_EN: 0
; COMPUTE_PGM_RSRC2:USER_SGPR: 6
; COMPUTE_PGM_RSRC2:TRAP_HANDLER: 0
; COMPUTE_PGM_RSRC2:TGID_X_EN: 1
; COMPUTE_PGM_RSRC2:TGID_Y_EN: 0
; COMPUTE_PGM_RSRC2:TGID_Z_EN: 0
; COMPUTE_PGM_RSRC2:TIDIG_COMP_CNT: 0
	.type	__hip_cuid_85f164e6880ed38b,@object ; @__hip_cuid_85f164e6880ed38b
	.section	.bss,"aw",@nobits
	.globl	__hip_cuid_85f164e6880ed38b
__hip_cuid_85f164e6880ed38b:
	.byte	0                               ; 0x0
	.size	__hip_cuid_85f164e6880ed38b, 1

	.ident	"AMD clang version 19.0.0git (https://github.com/RadeonOpenCompute/llvm-project roc-6.4.0 25133 c7fe45cf4b819c5991fe208aaa96edf142730f1d)"
	.section	".note.GNU-stack","",@progbits
	.addrsig
	.addrsig_sym __hip_cuid_85f164e6880ed38b
	.amdgpu_metadata
---
amdhsa.kernels:
  - .args:
      - .actual_access:  read_only
        .address_space:  global
        .offset:         0
        .size:           8
        .value_kind:     global_buffer
      - .actual_access:  read_only
        .address_space:  global
        .offset:         8
        .size:           8
        .value_kind:     global_buffer
      - .actual_access:  read_only
        .address_space:  global
        .offset:         16
        .size:           8
        .value_kind:     global_buffer
      - .actual_access:  read_only
        .address_space:  global
        .offset:         24
        .size:           8
        .value_kind:     global_buffer
      - .actual_access:  read_only
        .address_space:  global
        .offset:         32
        .size:           8
        .value_kind:     global_buffer
      - .offset:         40
        .size:           8
        .value_kind:     by_value
      - .address_space:  global
        .offset:         48
        .size:           8
        .value_kind:     global_buffer
      - .address_space:  global
        .offset:         56
        .size:           8
        .value_kind:     global_buffer
      - .address_space:  global
        .offset:         64
        .size:           8
        .value_kind:     global_buffer
      - .address_space:  global
        .offset:         72
        .size:           8
        .value_kind:     global_buffer
      - .offset:         80
        .size:           4
        .value_kind:     by_value
      - .address_space:  global
        .offset:         88
        .size:           8
        .value_kind:     global_buffer
      - .address_space:  global
        .offset:         96
        .size:           8
        .value_kind:     global_buffer
    .group_segment_fixed_size: 32768
    .kernarg_segment_align: 8
    .kernarg_segment_size: 104
    .language:       OpenCL C
    .language_version:
      - 2
      - 0
    .max_flat_workgroup_size: 256
    .name:           bluestein_single_back_len128_dim1_dp_op_CI_CI
    .private_segment_fixed_size: 0
    .sgpr_count:     26
    .sgpr_spill_count: 0
    .symbol:         bluestein_single_back_len128_dim1_dp_op_CI_CI.kd
    .uniform_work_group_size: 1
    .uses_dynamic_stack: false
    .vgpr_count:     256
    .vgpr_spill_count: 0
    .wavefront_size: 64
amdhsa.target:   amdgcn-amd-amdhsa--gfx906
amdhsa.version:
  - 1
  - 2
...

	.end_amdgpu_metadata
